;; amdgpu-corpus repo=zjin-lcf/HeCBench kind=compiled arch=gfx1250 opt=O3
	.amdgcn_target "amdgcn-amd-amdhsa--gfx1250"
	.amdhsa_code_object_version 6
	.text
	.protected	_Z3mhaPKfS0_S0_iiiiifiPf ; -- Begin function _Z3mhaPKfS0_S0_iiiiifiPf
	.globl	_Z3mhaPKfS0_S0_iiiiifiPf
	.p2align	8
	.type	_Z3mhaPKfS0_S0_iiiiifiPf,@function
_Z3mhaPKfS0_S0_iiiiifiPf:               ; @_Z3mhaPKfS0_S0_iiiiifiPf
; %bb.0:
	s_clause 0x1
	s_load_b128 s[8:11], s[0:1], 0x1c
	s_load_b64 s[4:5], s[0:1], 0x2c
	s_getreg_b32 s12, hwreg(HW_REG_IB_STS2, 6, 4)
	s_wait_kmcnt 0x0
	s_abs_i32 s2, s11
	s_cvt_f32_u32 s6, s11
	s_cvt_f32_u32 s3, s2
	s_sub_co_i32 s7, 0, s2
	s_delay_alu instid0(SALU_CYCLE_2) | instskip(SKIP_1) | instid1(TRANS32_DEP_1)
	v_rcp_iflag_f32_e32 v1, s3
	v_nop
	v_readfirstlane_b32 s3, v1
	v_rcp_iflag_f32_e32 v1, s6
	s_mul_f32 s3, s3, 0x4f7ffffe
	v_nop
	s_delay_alu instid0(TRANS32_DEP_1) | instskip(NEXT) | instid1(SALU_CYCLE_1)
	v_readfirstlane_b32 s14, v1
	s_cvt_u32_f32 s3, s3
	s_mul_f32 s14, s14, 0x4f7ffffe
	s_delay_alu instid0(SALU_CYCLE_2) | instskip(NEXT) | instid1(SALU_CYCLE_1)
	s_mul_i32 s7, s7, s3
	s_mul_hi_u32 s6, s3, s7
	s_abs_i32 s7, s9
	s_add_co_i32 s3, s3, s6
	s_xor_b32 s6, s9, s11
	s_mul_hi_u32 s3, s7, s3
	s_ashr_i32 s6, s6, 31
	s_mul_i32 s13, s3, s2
	s_delay_alu instid0(SALU_CYCLE_1)
	s_sub_co_i32 s7, s7, s13
	s_add_co_i32 s13, s3, 1
	s_sub_co_i32 s15, s7, s2
	s_cmp_ge_u32 s7, s2
	s_cselect_b32 s3, s13, s3
	s_cselect_b32 s7, s15, s7
	s_add_co_i32 s13, s3, 1
	s_cmp_ge_u32 s7, s2
	s_cvt_u32_f32 s2, s14
	s_cselect_b32 s3, s13, s3
	s_sub_co_i32 s7, 0, s11
	s_bfe_u32 s14, ttmp6, 0x4000c
	s_xor_b32 s3, s3, s6
	s_mul_i32 s7, s7, s2
	s_add_co_i32 s14, s14, 1
	s_and_b32 s13, ttmp6, 15
	s_sub_co_i32 s21, s3, s6
	s_mul_hi_u32 s3, s2, s7
	s_mul_i32 s6, ttmp9, s14
	s_add_co_i32 s2, s2, s3
	s_add_co_i32 s13, s13, s6
	s_cmp_eq_u32 s12, 0
	s_cselect_b32 s3, ttmp9, s13
	s_delay_alu instid0(SALU_CYCLE_1) | instskip(NEXT) | instid1(SALU_CYCLE_1)
	s_mul_hi_u32 s2, s3, s2
	s_mul_i32 s6, s2, s11
	s_add_co_i32 s7, s2, 1
	s_sub_co_i32 s6, s3, s6
	s_delay_alu instid0(SALU_CYCLE_1)
	s_sub_co_i32 s12, s6, s11
	s_cmp_ge_u32 s6, s11
	s_cselect_b32 s2, s7, s2
	s_cselect_b32 s6, s12, s6
	s_add_co_i32 s7, s2, 1
	s_cmp_ge_u32 s6, s11
	s_cselect_b32 s20, s7, s2
	v_cmp_gt_u32_e64 s2, s21, v0
	s_mul_i32 s6, s20, s11
	s_mul_i32 s7, s20, s9
	s_sub_co_i32 s3, s3, s6
	s_delay_alu instid0(SALU_CYCLE_1)
	s_mul_i32 s6, s3, s21
	s_and_saveexec_b32 s3, s2
	s_cbranch_execz .LBB0_2
; %bb.1:
	s_load_b64 s[12:13], s[0:1], 0x0
	v_add3_u32 v1, s7, s6, v0
	v_lshl_add_u32 v2, v0, 2, 40
	s_wait_kmcnt 0x0
	global_load_b32 v1, v1, s[12:13] scale_offset
	s_wait_loadcnt 0x0
	ds_store_b32 v2, v1
.LBB0_2:
	s_or_b32 exec_lo, exec_lo, s3
	s_clause 0x1
	s_load_b64 s[14:15], s[0:1], 0x10
	s_load_b64 s[12:13], s[0:1], 0x38
	v_cmp_gt_u32_e32 vcc_lo, s8, v0
	v_mov_b32_e32 v4, 0x9e3ce508
	s_wait_dscnt 0x0
	s_barrier_signal -1
	s_barrier_wait -1
	s_and_saveexec_b32 s3, vcc_lo
	s_cbranch_execz .LBB0_13
; %bb.3:
	s_cmp_lt_i32 s21, 1
	s_cbranch_scc1 .LBB0_8
; %bb.4:
	s_wait_xcnt 0x0
	s_load_b64 s[0:1], s[0:1], 0x8
	v_mul_lo_u32 v2, s9, v0
	s_mul_i32 s16, s7, s8
	v_mov_b32_e32 v3, 0
	s_ashr_i32 s17, s16, 31
	s_ashr_i32 s7, s6, 31
	s_cmp_lt_u32 s21, 8
	s_cbranch_scc1 .LBB0_9
; %bb.5:
	s_lshl_b64 s[18:19], s[16:17], 2
	s_lshl_b64 s[22:23], s[6:7], 2
	v_mov_b32_e32 v1, 0
	s_add_nc_u64 s[18:19], s[18:19], s[22:23]
	s_mov_b32 s9, 0
	s_wait_kmcnt 0x0
	s_add_nc_u64 s[18:19], s[0:1], s[18:19]
	s_mov_b32 s11, 40
	v_lshl_add_u64 v[4:5], v[2:3], 2, s[18:19]
	s_and_b32 s18, s21, 0x7ffffff8
	s_delay_alu instid0(VALU_DEP_1)
	v_add_nc_u64_e32 v[4:5], 28, v[4:5]
.LBB0_6:                                ; =>This Inner Loop Header: Depth=1
	s_clause 0x1
	global_load_b128 v[6:9], v[4:5], off offset:-28
	global_load_b128 v[10:13], v[4:5], off offset:-12
	v_mov_b32_e32 v20, s11
	s_wait_xcnt 0x0
	v_add_nc_u64_e32 v[4:5], 32, v[4:5]
	s_add_co_i32 s9, s9, 8
	s_add_co_i32 s11, s11, 32
	ds_load_2addr_b32 v[14:15], v20 offset1:1
	ds_load_2addr_b32 v[16:17], v20 offset0:2 offset1:3
	ds_load_2addr_b32 v[18:19], v20 offset0:4 offset1:5
	;; [unrolled: 1-line block ×3, first 2 shown]
	s_cmp_eq_u32 s18, s9
	s_wait_loadcnt_dscnt 0x103
	v_fmac_f32_e32 v1, v14, v6
	s_delay_alu instid0(VALU_DEP_1) | instskip(SKIP_1) | instid1(VALU_DEP_1)
	v_fmac_f32_e32 v1, v15, v7
	s_wait_dscnt 0x2
	v_fmac_f32_e32 v1, v16, v8
	s_delay_alu instid0(VALU_DEP_1) | instskip(SKIP_1) | instid1(VALU_DEP_1)
	v_fmac_f32_e32 v1, v17, v9
	s_wait_loadcnt_dscnt 0x1
	v_fmac_f32_e32 v1, v18, v10
	s_delay_alu instid0(VALU_DEP_1) | instskip(SKIP_1) | instid1(VALU_DEP_1)
	v_fmac_f32_e32 v1, v19, v11
	s_wait_dscnt 0x0
	v_fmac_f32_e32 v1, v20, v12
	s_delay_alu instid0(VALU_DEP_1)
	v_fmac_f32_e32 v1, v21, v13
	s_cbranch_scc0 .LBB0_6
; %bb.7:
	s_and_b32 s9, s21, 7
	s_mov_b32 s19, 0
	s_cmp_eq_u32 s9, 0
	s_cbranch_scc0 .LBB0_10
	s_branch .LBB0_12
.LBB0_8:
	v_mov_b32_e32 v1, 0
	s_branch .LBB0_12
.LBB0_9:
	v_mov_b32_e32 v1, v3
	s_mov_b32 s18, 0
	s_and_b32 s9, s21, 7
	s_mov_b32 s19, 0
	s_cmp_eq_u32 s9, 0
	s_cbranch_scc1 .LBB0_12
.LBB0_10:
	s_lshl_b64 s[16:17], s[16:17], 2
	s_lshl_b64 s[22:23], s[6:7], 2
	s_delay_alu instid0(SALU_CYCLE_1) | instskip(SKIP_1) | instid1(SALU_CYCLE_1)
	s_add_nc_u64 s[16:17], s[16:17], s[22:23]
	s_lshl_b64 s[22:23], s[18:19], 2
	s_add_nc_u64 s[16:17], s[16:17], s[22:23]
	s_wait_kmcnt 0x0
	s_add_nc_u64 s[0:1], s[0:1], s[16:17]
	s_delay_alu instid0(SALU_CYCLE_1) | instskip(SKIP_1) | instid1(SALU_CYCLE_1)
	v_lshl_add_u64 v[2:3], v[2:3], 2, s[0:1]
	s_lshl_b32 s0, s18, 2
	s_add_co_i32 s0, s0, 40
.LBB0_11:                               ; =>This Inner Loop Header: Depth=1
	global_load_b32 v4, v[2:3], off
	v_mov_b32_e32 v5, s0
	s_wait_xcnt 0x0
	v_add_nc_u64_e32 v[2:3], 4, v[2:3]
	s_add_co_i32 s9, s9, -1
	s_add_co_i32 s0, s0, 4
	s_cmp_lg_u32 s9, 0
	ds_load_b32 v5, v5
	s_wait_loadcnt_dscnt 0x0
	v_fmac_f32_e32 v1, v5, v4
	s_cbranch_scc1 .LBB0_11
.LBB0_12:
	s_delay_alu instid0(VALU_DEP_1)
	v_mul_f32_e32 v4, s4, v1
.LBB0_13:
	s_or_b32 exec_lo, exec_lo, s3
	s_delay_alu instid0(VALU_DEP_1) | instskip(SKIP_2) | instid1(VALU_DEP_2)
	v_mov_b32_dpp v1, v4 quad_perm:[1,0,3,2] row_mask:0xf bank_mask:0xf
	v_lshrrev_b32_e32 v5, 3, v0
	s_wait_kmcnt 0x0
	v_cmp_gt_f32_e64 s0, v4, v1
	s_delay_alu instid0(VALU_DEP_1) | instskip(NEXT) | instid1(VALU_DEP_1)
	v_cndmask_b32_e64 v1, v1, v4, s0
	v_mov_b32_dpp v2, v1 quad_perm:[2,3,0,1] row_mask:0xf bank_mask:0xf
	s_delay_alu instid0(VALU_DEP_1) | instskip(NEXT) | instid1(VALU_DEP_1)
	v_cmp_gt_f32_e64 s0, v1, v2
	v_cndmask_b32_e64 v1, v2, v1, s0
	s_delay_alu instid0(VALU_DEP_1) | instskip(NEXT) | instid1(VALU_DEP_1)
	v_mov_b32_dpp v2, v1 row_ror:4 row_mask:0xf bank_mask:0xf
	v_cmp_gt_f32_e64 s0, v1, v2
	s_delay_alu instid0(VALU_DEP_1) | instskip(NEXT) | instid1(VALU_DEP_1)
	v_cndmask_b32_e64 v1, v2, v1, s0
	v_mov_b32_dpp v2, v1 row_ror:8 row_mask:0xf bank_mask:0xf
	s_delay_alu instid0(VALU_DEP_1) | instskip(NEXT) | instid1(VALU_DEP_1)
	v_cmp_gt_f32_e64 s0, v1, v2
	v_cndmask_b32_e64 v1, v2, v1, s0
	ds_swizzle_b32 v2, v1 offset:swizzle(BROADCAST,32,15)
	s_wait_dscnt 0x0
	v_cmp_gt_f32_e64 s0, v1, v2
	s_delay_alu instid0(VALU_DEP_1) | instskip(SKIP_2) | instid1(VALU_DEP_1)
	v_dual_cndmask_b32 v1, v2, v1, s0 :: v_dual_mov_b32 v2, 0
	ds_bpermute_b32 v7, v2, v1 offset:124
	v_mbcnt_lo_u32_b32 v1, -1, 0
	v_cmp_eq_u32_e64 s0, 0, v1
	s_and_saveexec_b32 s1, s0
	s_cbranch_execz .LBB0_15
; %bb.14:
	v_and_b32_e32 v2, 0x7c, v5
	s_wait_dscnt 0x0
	ds_store_b32 v2, v7
.LBB0_15:
	s_or_b32 exec_lo, exec_lo, s1
	v_dual_lshlrev_b32 v2, 2, v1 :: v_dual_bitop2_b32 v3, 7, v1 bitop3:0x40
	v_cmp_gt_u32_e64 s1, 32, v0
	s_wait_dscnt 0x0
	s_barrier_signal -1
	s_delay_alu instid0(VALU_DEP_2)
	v_or_b32_e32 v2, 16, v2
	s_barrier_wait -1
	s_and_saveexec_b32 s4, s1
	s_cbranch_execz .LBB0_17
; %bb.16:
	v_lshlrev_b32_e32 v6, 2, v3
	v_cmp_ne_u32_e64 s3, 7, v3
	ds_load_b32 v6, v6
	v_add_co_ci_u32_e64 v7, null, 0, v1, s3
	v_cmp_gt_u32_e64 s3, 6, v3
	s_delay_alu instid0(VALU_DEP_2) | instskip(NEXT) | instid1(VALU_DEP_2)
	v_lshlrev_b32_e32 v7, 2, v7
	v_cndmask_b32_e64 v8, 0, 2, s3
	s_delay_alu instid0(VALU_DEP_1) | instskip(SKIP_4) | instid1(VALU_DEP_1)
	v_add_lshl_u32 v8, v8, v1, 2
	s_wait_dscnt 0x0
	ds_bpermute_b32 v7, v7, v6
	s_wait_dscnt 0x0
	v_cmp_lt_f32_e64 s3, v6, v7
	v_cndmask_b32_e64 v6, v6, v7, s3
	ds_bpermute_b32 v7, v8, v6
	s_wait_dscnt 0x0
	v_cmp_lt_f32_e64 s3, v6, v7
	s_delay_alu instid0(VALU_DEP_1) | instskip(SKIP_3) | instid1(VALU_DEP_1)
	v_cndmask_b32_e64 v6, v6, v7, s3
	ds_bpermute_b32 v7, v2, v6
	s_wait_dscnt 0x0
	v_cmp_lt_f32_e64 s3, v6, v7
	v_cndmask_b32_e64 v7, v6, v7, s3
.LBB0_17:
	s_or_b32 exec_lo, exec_lo, s4
	v_mov_b32_e32 v6, 0x7c
	v_cmp_eq_u32_e64 s3, 0, v0
	s_and_saveexec_b32 s4, s3
; %bb.18:
	v_mov_b32_e32 v8, 0
	ds_store_b32 v8, v7 offset:36
; %bb.19:
	s_or_b32 exec_lo, exec_lo, s4
	v_mov_b32_e32 v7, 0
	s_wait_dscnt 0x0
	s_barrier_signal -1
	s_barrier_wait -1
	ds_load_b32 v7, v7 offset:36
	s_sub_co_i32 s4, 0, s5
	s_delay_alu instid0(SALU_CYCLE_1)
	s_cvt_f32_i32 s5, s4
	s_wait_dscnt 0x0
	v_sub_f32_e32 v4, v4, v7
	s_delay_alu instid0(VALU_DEP_1) | instid1(SALU_CYCLE_1)
	v_cmp_gt_f32_e64 s4, s5, v4
	s_delay_alu instid0(VALU_DEP_1) | instskip(NEXT) | instid1(VALU_DEP_1)
	v_cndmask_b32_e64 v4, v4, s5, s4
	v_mul_f32_e32 v7, 0x3fb8aa3b, v4
	v_cmp_ngt_f32_e64 s4, 0xc2ce8ed0, v4
	s_delay_alu instid0(VALU_DEP_2) | instskip(SKIP_1) | instid1(VALU_DEP_1)
	v_fma_f32 v8, 0x3fb8aa3b, v4, -v7
	v_rndne_f32_e32 v9, v7
	v_dual_fmamk_f32 v8, v4, 0x32a5705f, v8 :: v_dual_sub_f32 v7, v7, v9
	s_delay_alu instid0(VALU_DEP_1) | instskip(SKIP_1) | instid1(VALU_DEP_2)
	v_add_f32_e32 v7, v7, v8
	v_cvt_i32_f32_e32 v8, v9
	v_exp_f32_e32 v7, v7
	v_nop
	s_delay_alu instid0(TRANS32_DEP_1) | instskip(NEXT) | instid1(VALU_DEP_1)
	v_ldexp_f32 v7, v7, v8
	v_cndmask_b32_e64 v7, 0, v7, s4
	v_cmp_nlt_f32_e64 s4, 0x42b17218, v4
	s_delay_alu instid0(VALU_DEP_1) | instskip(NEXT) | instid1(VALU_DEP_1)
	v_cndmask_b32_e64 v4, 0x7f800000, v7, s4
	v_cndmask_b32_e32 v7, 0, v4, vcc_lo
	s_delay_alu instid0(VALU_DEP_1) | instskip(NEXT) | instid1(VALU_DEP_1)
	v_mov_b32_dpp v8, v7 quad_perm:[1,0,3,2] row_mask:0xf bank_mask:0xf
	v_add_f32_e32 v7, v7, v8
	s_delay_alu instid0(VALU_DEP_1) | instskip(NEXT) | instid1(VALU_DEP_1)
	v_mov_b32_dpp v8, v7 quad_perm:[2,3,0,1] row_mask:0xf bank_mask:0xf
	v_add_f32_e32 v7, v7, v8
	s_delay_alu instid0(VALU_DEP_1) | instskip(NEXT) | instid1(VALU_DEP_1)
	v_mov_b32_dpp v8, v7 row_ror:4 row_mask:0xf bank_mask:0xf
	v_add_f32_e32 v7, v7, v8
	s_delay_alu instid0(VALU_DEP_1) | instskip(NEXT) | instid1(VALU_DEP_1)
	v_mov_b32_dpp v8, v7 row_ror:8 row_mask:0xf bank_mask:0xf
	v_add_f32_e32 v7, v7, v8
	ds_swizzle_b32 v8, v7 offset:swizzle(BROADCAST,32,15)
	s_wait_dscnt 0x0
	v_add_f32_e32 v7, v7, v8
	ds_bpermute_b32 v6, v6, v7
	s_and_saveexec_b32 s4, s0
	s_cbranch_execz .LBB0_21
; %bb.20:
	v_and_b32_e32 v5, 0x7c, v5
	s_wait_dscnt 0x0
	ds_store_b32 v5, v6
.LBB0_21:
	s_or_b32 exec_lo, exec_lo, s4
	s_wait_dscnt 0x0
	s_barrier_signal -1
	s_barrier_wait -1
	s_and_saveexec_b32 s4, s1
	s_cbranch_execz .LBB0_23
; %bb.22:
	v_cmp_ne_u32_e64 s0, 7, v3
	s_delay_alu instid0(VALU_DEP_1) | instskip(SKIP_2) | instid1(VALU_DEP_3)
	v_add_co_ci_u32_e64 v6, null, 0, v1, s0
	v_lshlrev_b32_e32 v5, 2, v3
	v_cmp_gt_u32_e64 s0, 6, v3
	v_lshlrev_b32_e32 v6, 2, v6
	ds_load_b32 v5, v5
	v_cndmask_b32_e64 v3, 0, 2, s0
	s_delay_alu instid0(VALU_DEP_1)
	v_add_lshl_u32 v1, v3, v1, 2
	s_wait_dscnt 0x0
	ds_bpermute_b32 v6, v6, v5
	s_wait_dscnt 0x0
	v_add_f32_e32 v5, v5, v6
	ds_bpermute_b32 v1, v1, v5
	s_wait_dscnt 0x0
	v_add_f32_e32 v1, v5, v1
	;; [unrolled: 3-line block ×3, first 2 shown]
.LBB0_23:
	s_or_b32 exec_lo, exec_lo, s4
	s_and_saveexec_b32 s0, s3
; %bb.24:
	v_mov_b32_e32 v1, 0
	ds_store_b32 v1, v6 offset:32
; %bb.25:
	s_or_b32 exec_lo, exec_lo, s0
	s_lshl_b32 s0, s21, 2
	s_wait_dscnt 0x0
	s_add_co_i32 s0, s0, 40
	s_barrier_signal -1
	s_barrier_wait -1
	s_and_saveexec_b32 s1, vcc_lo
	s_cbranch_execz .LBB0_27
; %bb.26:
	v_mov_b32_e32 v1, 0
	ds_load_b32 v1, v1 offset:32
	s_wait_dscnt 0x0
	v_div_scale_f32 v2, null, v1, v1, v4
	s_delay_alu instid0(VALU_DEP_1) | instskip(SKIP_1) | instid1(TRANS32_DEP_1)
	v_rcp_f32_e32 v3, v2
	v_nop
	v_fma_f32 v5, -v2, v3, 1.0
	s_delay_alu instid0(VALU_DEP_1) | instskip(SKIP_1) | instid1(VALU_DEP_1)
	v_fmac_f32_e32 v3, v5, v3
	v_div_scale_f32 v5, vcc_lo, v4, v1, v4
	v_mul_f32_e32 v6, v5, v3
	s_delay_alu instid0(VALU_DEP_1) | instskip(NEXT) | instid1(VALU_DEP_1)
	v_fma_f32 v7, -v2, v6, v5
	v_fmac_f32_e32 v6, v7, v3
	s_delay_alu instid0(VALU_DEP_1) | instskip(NEXT) | instid1(VALU_DEP_1)
	v_fma_f32 v2, -v2, v6, v5
	v_div_fmas_f32 v2, v2, v3, v6
	v_lshl_add_u32 v3, v0, 2, s0
	s_delay_alu instid0(VALU_DEP_2)
	v_div_fixup_f32 v1, v2, v1, v4
	ds_store_b32 v3, v1
.LBB0_27:
	s_or_b32 exec_lo, exec_lo, s1
	s_wait_dscnt 0x0
	s_barrier_signal -1
	s_barrier_wait -1
	s_and_saveexec_b32 s1, s2
	s_cbranch_execz .LBB0_33
; %bb.28:
	s_cmp_lt_i32 s8, 1
	s_mul_i32 s1, s20, s10
	s_cbranch_scc1 .LBB0_31
; %bb.29:
	s_mul_i32 s2, s1, s8
	v_mov_b32_e32 v1, 0
	v_add3_u32 v2, s2, s6, v0
.LBB0_30:                               ; =>This Inner Loop Header: Depth=1
	global_load_b32 v3, v2, s[14:15] scale_offset
	s_wait_xcnt 0x0
	v_dual_mov_b32 v4, s0 :: v_dual_add_nc_u32 v2, s10, v2
	s_add_co_i32 s8, s8, -1
	s_add_co_i32 s0, s0, 4
	s_cmp_eq_u32 s8, 0
	ds_load_b32 v4, v4
	s_wait_loadcnt_dscnt 0x0
	v_fmac_f32_e32 v1, v4, v3
	s_cbranch_scc0 .LBB0_30
	s_branch .LBB0_32
.LBB0_31:
	v_mov_b32_e32 v1, 0
.LBB0_32:
	v_add3_u32 v0, s6, s1, v0
	global_store_b32 v0, v1, s[12:13] scale_offset
.LBB0_33:
	s_endpgm
	.section	.rodata,"a",@progbits
	.p2align	6, 0x0
	.amdhsa_kernel _Z3mhaPKfS0_S0_iiiiifiPf
		.amdhsa_group_segment_fixed_size 40
		.amdhsa_private_segment_fixed_size 0
		.amdhsa_kernarg_size 64
		.amdhsa_user_sgpr_count 2
		.amdhsa_user_sgpr_dispatch_ptr 0
		.amdhsa_user_sgpr_queue_ptr 0
		.amdhsa_user_sgpr_kernarg_segment_ptr 1
		.amdhsa_user_sgpr_dispatch_id 0
		.amdhsa_user_sgpr_kernarg_preload_length 0
		.amdhsa_user_sgpr_kernarg_preload_offset 0
		.amdhsa_user_sgpr_private_segment_size 0
		.amdhsa_wavefront_size32 1
		.amdhsa_uses_dynamic_stack 0
		.amdhsa_enable_private_segment 0
		.amdhsa_system_sgpr_workgroup_id_x 1
		.amdhsa_system_sgpr_workgroup_id_y 0
		.amdhsa_system_sgpr_workgroup_id_z 0
		.amdhsa_system_sgpr_workgroup_info 0
		.amdhsa_system_vgpr_workitem_id 0
		.amdhsa_next_free_vgpr 22
		.amdhsa_next_free_sgpr 24
		.amdhsa_named_barrier_count 0
		.amdhsa_reserve_vcc 1
		.amdhsa_float_round_mode_32 0
		.amdhsa_float_round_mode_16_64 0
		.amdhsa_float_denorm_mode_32 3
		.amdhsa_float_denorm_mode_16_64 3
		.amdhsa_fp16_overflow 0
		.amdhsa_memory_ordered 1
		.amdhsa_forward_progress 1
		.amdhsa_inst_pref_size 17
		.amdhsa_round_robin_scheduling 0
		.amdhsa_exception_fp_ieee_invalid_op 0
		.amdhsa_exception_fp_denorm_src 0
		.amdhsa_exception_fp_ieee_div_zero 0
		.amdhsa_exception_fp_ieee_overflow 0
		.amdhsa_exception_fp_ieee_underflow 0
		.amdhsa_exception_fp_ieee_inexact 0
		.amdhsa_exception_int_div_zero 0
	.end_amdhsa_kernel
	.text
.Lfunc_end0:
	.size	_Z3mhaPKfS0_S0_iiiiifiPf, .Lfunc_end0-_Z3mhaPKfS0_S0_iiiiifiPf
                                        ; -- End function
	.set _Z3mhaPKfS0_S0_iiiiifiPf.num_vgpr, 22
	.set _Z3mhaPKfS0_S0_iiiiifiPf.num_agpr, 0
	.set _Z3mhaPKfS0_S0_iiiiifiPf.numbered_sgpr, 24
	.set _Z3mhaPKfS0_S0_iiiiifiPf.num_named_barrier, 0
	.set _Z3mhaPKfS0_S0_iiiiifiPf.private_seg_size, 0
	.set _Z3mhaPKfS0_S0_iiiiifiPf.uses_vcc, 1
	.set _Z3mhaPKfS0_S0_iiiiifiPf.uses_flat_scratch, 0
	.set _Z3mhaPKfS0_S0_iiiiifiPf.has_dyn_sized_stack, 0
	.set _Z3mhaPKfS0_S0_iiiiifiPf.has_recursion, 0
	.set _Z3mhaPKfS0_S0_iiiiifiPf.has_indirect_call, 0
	.section	.AMDGPU.csdata,"",@progbits
; Kernel info:
; codeLenInByte = 2096
; TotalNumSgprs: 26
; NumVgprs: 22
; ScratchSize: 0
; MemoryBound: 0
; FloatMode: 240
; IeeeMode: 1
; LDSByteSize: 40 bytes/workgroup (compile time only)
; SGPRBlocks: 0
; VGPRBlocks: 1
; NumSGPRsForWavesPerEU: 26
; NumVGPRsForWavesPerEU: 22
; NamedBarCnt: 0
; Occupancy: 16
; WaveLimiterHint : 0
; COMPUTE_PGM_RSRC2:SCRATCH_EN: 0
; COMPUTE_PGM_RSRC2:USER_SGPR: 2
; COMPUTE_PGM_RSRC2:TRAP_HANDLER: 0
; COMPUTE_PGM_RSRC2:TGID_X_EN: 1
; COMPUTE_PGM_RSRC2:TGID_Y_EN: 0
; COMPUTE_PGM_RSRC2:TGID_Z_EN: 0
; COMPUTE_PGM_RSRC2:TIDIG_COMP_CNT: 0
	.text
	.p2alignl 7, 3214868480
	.fill 96, 4, 3214868480
	.section	.AMDGPU.gpr_maximums,"",@progbits
	.set amdgpu.max_num_vgpr, 0
	.set amdgpu.max_num_agpr, 0
	.set amdgpu.max_num_sgpr, 0
	.text
	.type	__hip_cuid_765a7714725127a2,@object ; @__hip_cuid_765a7714725127a2
	.section	.bss,"aw",@nobits
	.globl	__hip_cuid_765a7714725127a2
__hip_cuid_765a7714725127a2:
	.byte	0                               ; 0x0
	.size	__hip_cuid_765a7714725127a2, 1

	.ident	"AMD clang version 22.0.0git (https://github.com/RadeonOpenCompute/llvm-project roc-7.2.4 26084 f58b06dce1f9c15707c5f808fd002e18c2accf7e)"
	.section	".note.GNU-stack","",@progbits
	.addrsig
	.addrsig_sym __hip_cuid_765a7714725127a2
	.amdgpu_metadata
---
amdhsa.kernels:
  - .args:
      - .actual_access:  read_only
        .address_space:  global
        .offset:         0
        .size:           8
        .value_kind:     global_buffer
      - .actual_access:  read_only
        .address_space:  global
        .offset:         8
        .size:           8
        .value_kind:     global_buffer
      - .actual_access:  read_only
        .address_space:  global
        .offset:         16
        .size:           8
        .value_kind:     global_buffer
      - .offset:         24
        .size:           4
        .value_kind:     by_value
      - .offset:         28
        .size:           4
        .value_kind:     by_value
      - .offset:         32
        .size:           4
        .value_kind:     by_value
      - .offset:         36
        .size:           4
        .value_kind:     by_value
      - .offset:         40
        .size:           4
        .value_kind:     by_value
      - .offset:         44
        .size:           4
        .value_kind:     by_value
      - .offset:         48
        .size:           4
        .value_kind:     by_value
      - .actual_access:  write_only
        .address_space:  global
        .offset:         56
        .size:           8
        .value_kind:     global_buffer
    .group_segment_fixed_size: 40
    .kernarg_segment_align: 8
    .kernarg_segment_size: 64
    .language:       OpenCL C
    .language_version:
      - 2
      - 0
    .max_flat_workgroup_size: 1024
    .name:           _Z3mhaPKfS0_S0_iiiiifiPf
    .private_segment_fixed_size: 0
    .sgpr_count:     26
    .sgpr_spill_count: 0
    .symbol:         _Z3mhaPKfS0_S0_iiiiifiPf.kd
    .uniform_work_group_size: 1
    .uses_dynamic_stack: false
    .vgpr_count:     22
    .vgpr_spill_count: 0
    .wavefront_size: 32
amdhsa.target:   amdgcn-amd-amdhsa--gfx1250
amdhsa.version:
  - 1
  - 2
...

	.end_amdgpu_metadata
